;; amdgpu-corpus repo=ROCm/rocBLAS kind=compiled arch=gfx1201 opt=O3
	.amdgcn_target "amdgcn-amd-amdhsa--gfx1201"
	.amdhsa_code_object_version 6
	.section	.text._ZL19rocblas_spr2_kernelILi128ELi8ELi2E24rocblas_internal_val_ptrIfEPKfPfEvbbiT2_T3_lllS6_lllT4_lli,"axG",@progbits,_ZL19rocblas_spr2_kernelILi128ELi8ELi2E24rocblas_internal_val_ptrIfEPKfPfEvbbiT2_T3_lllS6_lllT4_lli,comdat
	.globl	_ZL19rocblas_spr2_kernelILi128ELi8ELi2E24rocblas_internal_val_ptrIfEPKfPfEvbbiT2_T3_lllS6_lllT4_lli ; -- Begin function _ZL19rocblas_spr2_kernelILi128ELi8ELi2E24rocblas_internal_val_ptrIfEPKfPfEvbbiT2_T3_lllS6_lllT4_lli
	.p2align	8
	.type	_ZL19rocblas_spr2_kernelILi128ELi8ELi2E24rocblas_internal_val_ptrIfEPKfPfEvbbiT2_T3_lllS6_lllT4_lli,@function
_ZL19rocblas_spr2_kernelILi128ELi8ELi2E24rocblas_internal_val_ptrIfEPKfPfEvbbiT2_T3_lllS6_lllT4_lli: ; @_ZL19rocblas_spr2_kernelILi128ELi8ELi2E24rocblas_internal_val_ptrIfEPKfPfEvbbiT2_T3_lllS6_lllT4_lli
; %bb.0:
	s_clause 0x1
	s_load_b32 s2, s[0:1], 0x0
	s_load_b512 s[4:19], s[0:1], 0x8
	s_wait_kmcnt 0x0
	s_bitcmp0_b32 s2, 0
	s_mov_b32 s2, 0
	s_cbranch_scc0 .LBB0_2
; %bb.1:
	s_load_b32 s30, s[4:5], 0x0
	s_and_not1_b32 vcc_lo, exec_lo, s2
	s_cbranch_vccz .LBB0_3
	s_branch .LBB0_4
.LBB0_2:
                                        ; implicit-def: $sgpr30
.LBB0_3:
	s_wait_kmcnt 0x0
	s_mov_b32 s30, s4
.LBB0_4:
	s_wait_kmcnt 0x0
	s_cmp_eq_f32 s30, 0
	s_cbranch_scc1 .LBB0_20
; %bb.5:
	s_load_b32 s31, s[0:1], 0x68
	s_lshr_b32 s4, ttmp7, 16
	s_wait_kmcnt 0x0
	s_cmp_ge_u32 s4, s31
	s_cbranch_scc1 .LBB0_20
; %bb.6:
	s_clause 0x1
	s_load_b256 s[20:27], s[0:1], 0x48
	s_load_b64 s[28:29], s[0:1], 0x0
	v_and_b32_e32 v1, 0x3ff, v0
	s_lshl_b64 s[2:3], s[16:17], 2
	s_lshl_b64 s[0:1], s[8:9], 2
	v_bfe_u32 v0, v0, 10, 10
	s_add_nc_u64 s[8:9], s[14:15], s[2:3]
	v_lshl_add_u32 v12, ttmp9, 8, v1
	s_add_nc_u64 s[6:7], s[6:7], s[0:1]
	s_mov_b32 s5, 0
	s_delay_alu instid0(VALU_DEP_1) | instskip(SKIP_3) | instid1(VALU_DEP_4)
	v_ashrrev_i32_e32 v1, 31, v12
	v_add_nc_u32_e32 v18, 0x80, v12
	v_mul_lo_u32 v16, s11, v12
	v_mad_co_u64_u32 v[4:5], null, s10, v12, 0
	v_mul_lo_u32 v19, s10, v1
	v_mul_lo_u32 v20, s18, v1
	v_ashrrev_i32_e32 v14, 31, v18
	s_wait_kmcnt 0x0
	s_lshl_b64 s[2:3], s[24:25], 2
	s_bitcmp1_b32 s28, 8
	v_mul_lo_u32 v17, s19, v12
	s_cselect_b32 vcc_lo, -1, 0
	s_and_b32 s0, ttmp7, 0xffff
	s_lshl_b32 s1, s29, 1
	s_wait_alu 0xfffe
	v_lshl_add_u32 v0, s0, 3, v0
	v_mad_co_u64_u32 v[6:7], null, s18, v12, 0
	v_cmp_gt_i32_e64 s0, s29, v12
	v_mul_lo_u32 v21, s10, v14
	s_delay_alu instid0(VALU_DEP_4)
	v_mad_co_u64_u32 v[1:2], null, v0, v0, v[0:1]
	v_sub_nc_u32_e32 v3, s1, v0
	v_ashrrev_i32_e32 v13, 31, v0
	v_mad_co_u64_u32 v[8:9], null, s18, v0, 0
	v_mul_lo_u32 v15, s11, v0
	v_mad_co_u64_u32 v[10:11], null, s10, v0, 0
	v_mad_co_u64_u32 v[2:3], null, v0, v3, v[0:1]
	v_lshrrev_b32_e32 v22, 31, v1
	v_mul_lo_u32 v3, s19, v0
	v_mul_lo_u32 v24, s18, v13
	;; [unrolled: 1-line block ×3, first 2 shown]
	s_add_nc_u64 s[14:15], s[22:23], s[2:3]
	v_add_nc_u32_e32 v1, v1, v22
	v_lshrrev_b32_e32 v23, 31, v2
	v_sub_nc_u32_e32 v22, v12, v0
	v_cmp_ge_i32_e64 s2, v12, v0
	v_cmp_le_i32_e64 s3, v12, v0
	v_ashrrev_i32_e32 v1, 1, v1
	v_add_nc_u32_e32 v2, v2, v23
	v_add3_u32 v9, v9, v24, v3
	v_add3_u32 v11, v11, v13, v15
	v_mul_lo_u32 v3, s11, v18
	v_add_nc_u32_e32 v1, v1, v12
	v_ashrrev_i32_e32 v2, 1, v2
	v_mad_co_u64_u32 v[12:13], null, s10, v18, 0
	v_mul_lo_u32 v23, s19, v18
	v_add3_u32 v5, v5, v19, v16
	s_delay_alu instid0(VALU_DEP_4) | instskip(SKIP_3) | instid1(VALU_DEP_4)
	v_add_nc_u32_e32 v2, v22, v2
	v_mul_lo_u32 v22, s18, v14
	v_mad_co_u64_u32 v[14:15], null, s18, v18, 0
	v_cmp_gt_i32_e64 s1, s29, v0
	v_cndmask_b32_e32 v16, v2, v1, vcc_lo
	v_add3_u32 v7, v7, v20, v17
	v_add3_u32 v13, v13, v21, v3
	s_and_b32 s16, s2, s0
	s_and_b32 s17, s3, s1
	v_add3_u32 v15, v15, v22, v23
	v_ashrrev_i32_e32 v17, 31, v16
	v_cmp_gt_i32_e64 s0, s29, v18
	v_cmp_le_i32_e64 s2, v0, v18
	v_cmp_le_i32_e64 s3, v18, v0
	v_lshlrev_b64_e32 v[0:1], 2, v[8:9]
	v_lshlrev_b64_e32 v[2:3], 2, v[10:11]
	;; [unrolled: 1-line block ×7, first 2 shown]
	s_xor_b32 s18, vcc_lo, -1
	s_and_b32 s19, s2, s0
	s_and_b32 s22, s1, s3
	s_branch .LBB0_8
.LBB0_7:                                ;   in Loop: Header=BB0_8 Depth=1
	s_or_b32 exec_lo, exec_lo, s23
	s_add_co_i32 s4, s4, 0x10000
	s_delay_alu instid0(SALU_CYCLE_1)
	s_cmp_lt_u32 s4, s31
	s_cbranch_scc0 .LBB0_20
.LBB0_8:                                ; =>This Inner Loop Header: Depth=1
	s_wait_alu 0xfffe
	s_and_b32 vcc_lo, exec_lo, s18
	s_mov_b32 s23, 0
	s_mov_b32 s0, -1
	s_wait_alu 0xfffe
	s_cbranch_vccz .LBB0_10
; %bb.9:                                ;   in Loop: Header=BB0_8 Depth=1
	s_mov_b32 s0, 0
	s_and_b32 s23, s16, exec_lo
.LBB0_10:                               ;   in Loop: Header=BB0_8 Depth=1
	s_wait_alu 0xfffe
	s_and_not1_b32 vcc_lo, exec_lo, s0
	s_wait_alu 0xfffe
	s_cbranch_vccnz .LBB0_12
; %bb.11:                               ;   in Loop: Header=BB0_8 Depth=1
	s_and_not1_b32 s0, s23, exec_lo
	s_and_b32 s1, s17, exec_lo
	s_wait_alu 0xfffe
	s_or_b32 s23, s0, s1
.LBB0_12:                               ;   in Loop: Header=BB0_8 Depth=1
	s_mul_u64 s[10:11], s[20:21], s[4:5]
	s_mul_u64 s[2:3], s[12:13], s[4:5]
	s_wait_alu 0xfffe
	s_lshl_b64 s[10:11], s[10:11], 2
	s_lshl_b64 s[2:3], s[2:3], 2
	s_wait_alu 0xfffe
	s_add_nc_u64 s[10:11], s[8:9], s[10:11]
	s_add_nc_u64 s[2:3], s[6:7], s[2:3]
	s_wait_alu 0xfffe
	v_add_co_u32 v14, vcc_lo, s10, v0
	s_wait_alu 0xfffd
	v_add_co_ci_u32_e64 v15, null, s11, v1, vcc_lo
	v_add_co_u32 v16, vcc_lo, s2, v2
	s_mul_u64 s[0:1], s[26:27], s[4:5]
	s_wait_alu 0xfffd
	v_add_co_ci_u32_e64 v17, null, s3, v3, vcc_lo
	s_wait_alu 0xfffe
	s_lshl_b64 s[0:1], s[0:1], 2
	s_wait_alu 0xfffe
	s_add_nc_u64 s[0:1], s[14:15], s[0:1]
	s_and_saveexec_b32 s24, s23
	s_cbranch_execz .LBB0_14
; %bb.13:                               ;   in Loop: Header=BB0_8 Depth=1
	v_add_co_u32 v18, vcc_lo, s10, v6
	s_wait_alu 0xfffd
	v_add_co_ci_u32_e64 v19, null, s11, v7, vcc_lo
	v_add_co_u32 v20, vcc_lo, s2, v4
	s_wait_alu 0xfffd
	v_add_co_ci_u32_e64 v21, null, s3, v5, vcc_lo
	global_load_b32 v22, v[18:19], off
	s_clause 0x1
	global_load_b32 v20, v[20:21], off
	global_load_b32 v21, v[16:17], off
	;; [unrolled: 1-line block ×3, first 2 shown]
	s_wait_alu 0xfffe
	v_add_co_u32 v18, vcc_lo, s0, v8
	s_wait_alu 0xfffd
	v_add_co_ci_u32_e64 v19, null, s1, v9, vcc_lo
	global_load_b32 v24, v[18:19], off
	s_wait_loadcnt 0x3
	v_mul_f32_e32 v20, s30, v20
	v_mul_f32_e32 v22, s30, v22
	s_wait_loadcnt 0x2
	s_delay_alu instid0(VALU_DEP_1) | instskip(SKIP_1) | instid1(VALU_DEP_1)
	v_mul_f32_e32 v21, v22, v21
	s_wait_loadcnt 0x1
	v_fmac_f32_e32 v21, v20, v23
	s_wait_loadcnt 0x0
	s_delay_alu instid0(VALU_DEP_1)
	v_add_f32_e32 v20, v24, v21
	global_store_b32 v[18:19], v20, off
.LBB0_14:                               ;   in Loop: Header=BB0_8 Depth=1
	s_or_b32 exec_lo, exec_lo, s24
	s_delay_alu instid0(SALU_CYCLE_1)
	s_and_not1_b32 vcc_lo, exec_lo, s18
	s_wait_alu 0xfffe
	s_cbranch_vccnz .LBB0_19
; %bb.15:                               ;   in Loop: Header=BB0_8 Depth=1
	s_and_b32 s24, s19, exec_lo
	s_cbranch_execnz .LBB0_17
.LBB0_16:                               ;   in Loop: Header=BB0_8 Depth=1
	s_and_not1_b32 s23, s24, exec_lo
	s_and_b32 s24, s22, exec_lo
	s_delay_alu instid0(SALU_CYCLE_1)
	s_or_b32 s24, s23, s24
.LBB0_17:                               ;   in Loop: Header=BB0_8 Depth=1
	s_delay_alu instid0(SALU_CYCLE_1)
	s_and_saveexec_b32 s23, s24
	s_cbranch_execz .LBB0_7
; %bb.18:                               ;   in Loop: Header=BB0_8 Depth=1
	v_add_co_u32 v18, vcc_lo, s10, v12
	s_wait_alu 0xfffd
	v_add_co_ci_u32_e64 v19, null, s11, v13, vcc_lo
	v_add_co_u32 v20, vcc_lo, s2, v10
	s_wait_alu 0xfffd
	v_add_co_ci_u32_e64 v21, null, s3, v11, vcc_lo
	global_load_b32 v18, v[18:19], off
	s_clause 0x1
	global_load_b32 v19, v[20:21], off
	global_load_b32 v16, v[16:17], off
	;; [unrolled: 1-line block ×3, first 2 shown]
	v_add_co_u32 v14, vcc_lo, s0, v8
	s_wait_alu 0xfffd
	v_add_co_ci_u32_e64 v15, null, s1, v9, vcc_lo
	global_load_b32 v20, v[14:15], off offset:512
	s_wait_loadcnt 0x3
	v_dual_mul_f32 v18, s30, v18 :: v_dual_mul_f32 v19, s30, v19
	s_wait_loadcnt 0x2
	s_delay_alu instid0(VALU_DEP_1) | instskip(SKIP_1) | instid1(VALU_DEP_1)
	v_mul_f32_e32 v16, v18, v16
	s_wait_loadcnt 0x1
	v_fmac_f32_e32 v16, v19, v17
	s_wait_loadcnt 0x0
	s_delay_alu instid0(VALU_DEP_1)
	v_add_f32_e32 v16, v20, v16
	global_store_b32 v[14:15], v16, off offset:512
	s_branch .LBB0_7
.LBB0_19:                               ;   in Loop: Header=BB0_8 Depth=1
	s_mov_b32 s24, 0
	s_branch .LBB0_16
.LBB0_20:
	s_endpgm
	.section	.rodata,"a",@progbits
	.p2align	6, 0x0
	.amdhsa_kernel _ZL19rocblas_spr2_kernelILi128ELi8ELi2E24rocblas_internal_val_ptrIfEPKfPfEvbbiT2_T3_lllS6_lllT4_lli
		.amdhsa_group_segment_fixed_size 0
		.amdhsa_private_segment_fixed_size 0
		.amdhsa_kernarg_size 108
		.amdhsa_user_sgpr_count 2
		.amdhsa_user_sgpr_dispatch_ptr 0
		.amdhsa_user_sgpr_queue_ptr 0
		.amdhsa_user_sgpr_kernarg_segment_ptr 1
		.amdhsa_user_sgpr_dispatch_id 0
		.amdhsa_user_sgpr_private_segment_size 0
		.amdhsa_wavefront_size32 1
		.amdhsa_uses_dynamic_stack 0
		.amdhsa_enable_private_segment 0
		.amdhsa_system_sgpr_workgroup_id_x 1
		.amdhsa_system_sgpr_workgroup_id_y 1
		.amdhsa_system_sgpr_workgroup_id_z 1
		.amdhsa_system_sgpr_workgroup_info 0
		.amdhsa_system_vgpr_workitem_id 1
		.amdhsa_next_free_vgpr 25
		.amdhsa_next_free_sgpr 32
		.amdhsa_reserve_vcc 1
		.amdhsa_float_round_mode_32 0
		.amdhsa_float_round_mode_16_64 0
		.amdhsa_float_denorm_mode_32 3
		.amdhsa_float_denorm_mode_16_64 3
		.amdhsa_fp16_overflow 0
		.amdhsa_workgroup_processor_mode 1
		.amdhsa_memory_ordered 1
		.amdhsa_forward_progress 1
		.amdhsa_inst_pref_size 10
		.amdhsa_round_robin_scheduling 0
		.amdhsa_exception_fp_ieee_invalid_op 0
		.amdhsa_exception_fp_denorm_src 0
		.amdhsa_exception_fp_ieee_div_zero 0
		.amdhsa_exception_fp_ieee_overflow 0
		.amdhsa_exception_fp_ieee_underflow 0
		.amdhsa_exception_fp_ieee_inexact 0
		.amdhsa_exception_int_div_zero 0
	.end_amdhsa_kernel
	.section	.text._ZL19rocblas_spr2_kernelILi128ELi8ELi2E24rocblas_internal_val_ptrIfEPKfPfEvbbiT2_T3_lllS6_lllT4_lli,"axG",@progbits,_ZL19rocblas_spr2_kernelILi128ELi8ELi2E24rocblas_internal_val_ptrIfEPKfPfEvbbiT2_T3_lllS6_lllT4_lli,comdat
.Lfunc_end0:
	.size	_ZL19rocblas_spr2_kernelILi128ELi8ELi2E24rocblas_internal_val_ptrIfEPKfPfEvbbiT2_T3_lllS6_lllT4_lli, .Lfunc_end0-_ZL19rocblas_spr2_kernelILi128ELi8ELi2E24rocblas_internal_val_ptrIfEPKfPfEvbbiT2_T3_lllS6_lllT4_lli
                                        ; -- End function
	.set _ZL19rocblas_spr2_kernelILi128ELi8ELi2E24rocblas_internal_val_ptrIfEPKfPfEvbbiT2_T3_lllS6_lllT4_lli.num_vgpr, 25
	.set _ZL19rocblas_spr2_kernelILi128ELi8ELi2E24rocblas_internal_val_ptrIfEPKfPfEvbbiT2_T3_lllS6_lllT4_lli.num_agpr, 0
	.set _ZL19rocblas_spr2_kernelILi128ELi8ELi2E24rocblas_internal_val_ptrIfEPKfPfEvbbiT2_T3_lllS6_lllT4_lli.numbered_sgpr, 32
	.set _ZL19rocblas_spr2_kernelILi128ELi8ELi2E24rocblas_internal_val_ptrIfEPKfPfEvbbiT2_T3_lllS6_lllT4_lli.num_named_barrier, 0
	.set _ZL19rocblas_spr2_kernelILi128ELi8ELi2E24rocblas_internal_val_ptrIfEPKfPfEvbbiT2_T3_lllS6_lllT4_lli.private_seg_size, 0
	.set _ZL19rocblas_spr2_kernelILi128ELi8ELi2E24rocblas_internal_val_ptrIfEPKfPfEvbbiT2_T3_lllS6_lllT4_lli.uses_vcc, 1
	.set _ZL19rocblas_spr2_kernelILi128ELi8ELi2E24rocblas_internal_val_ptrIfEPKfPfEvbbiT2_T3_lllS6_lllT4_lli.uses_flat_scratch, 0
	.set _ZL19rocblas_spr2_kernelILi128ELi8ELi2E24rocblas_internal_val_ptrIfEPKfPfEvbbiT2_T3_lllS6_lllT4_lli.has_dyn_sized_stack, 0
	.set _ZL19rocblas_spr2_kernelILi128ELi8ELi2E24rocblas_internal_val_ptrIfEPKfPfEvbbiT2_T3_lllS6_lllT4_lli.has_recursion, 0
	.set _ZL19rocblas_spr2_kernelILi128ELi8ELi2E24rocblas_internal_val_ptrIfEPKfPfEvbbiT2_T3_lllS6_lllT4_lli.has_indirect_call, 0
	.section	.AMDGPU.csdata,"",@progbits
; Kernel info:
; codeLenInByte = 1232
; TotalNumSgprs: 34
; NumVgprs: 25
; ScratchSize: 0
; MemoryBound: 0
; FloatMode: 240
; IeeeMode: 1
; LDSByteSize: 0 bytes/workgroup (compile time only)
; SGPRBlocks: 0
; VGPRBlocks: 3
; NumSGPRsForWavesPerEU: 34
; NumVGPRsForWavesPerEU: 25
; Occupancy: 16
; WaveLimiterHint : 1
; COMPUTE_PGM_RSRC2:SCRATCH_EN: 0
; COMPUTE_PGM_RSRC2:USER_SGPR: 2
; COMPUTE_PGM_RSRC2:TRAP_HANDLER: 0
; COMPUTE_PGM_RSRC2:TGID_X_EN: 1
; COMPUTE_PGM_RSRC2:TGID_Y_EN: 1
; COMPUTE_PGM_RSRC2:TGID_Z_EN: 1
; COMPUTE_PGM_RSRC2:TIDIG_COMP_CNT: 1
	.section	.text._ZL19rocblas_spr2_kernelILi128ELi8ELi1E24rocblas_internal_val_ptrIdEPKdPdEvbbiT2_T3_lllS6_lllT4_lli,"axG",@progbits,_ZL19rocblas_spr2_kernelILi128ELi8ELi1E24rocblas_internal_val_ptrIdEPKdPdEvbbiT2_T3_lllS6_lllT4_lli,comdat
	.globl	_ZL19rocblas_spr2_kernelILi128ELi8ELi1E24rocblas_internal_val_ptrIdEPKdPdEvbbiT2_T3_lllS6_lllT4_lli ; -- Begin function _ZL19rocblas_spr2_kernelILi128ELi8ELi1E24rocblas_internal_val_ptrIdEPKdPdEvbbiT2_T3_lllS6_lllT4_lli
	.p2align	8
	.type	_ZL19rocblas_spr2_kernelILi128ELi8ELi1E24rocblas_internal_val_ptrIdEPKdPdEvbbiT2_T3_lllS6_lllT4_lli,@function
_ZL19rocblas_spr2_kernelILi128ELi8ELi1E24rocblas_internal_val_ptrIdEPKdPdEvbbiT2_T3_lllS6_lllT4_lli: ; @_ZL19rocblas_spr2_kernelILi128ELi8ELi1E24rocblas_internal_val_ptrIdEPKdPdEvbbiT2_T3_lllS6_lllT4_lli
; %bb.0:
	s_clause 0x1
	s_load_b32 s2, s[0:1], 0x0
	s_load_b512 s[4:19], s[0:1], 0x8
	s_wait_kmcnt 0x0
	s_bitcmp1_b32 s2, 0
	v_dual_mov_b32 v1, s4 :: v_dual_mov_b32 v2, s5
	s_cselect_b32 s2, -1, 0
	s_delay_alu instid0(SALU_CYCLE_1)
	s_and_b32 vcc_lo, exec_lo, s2
	s_cbranch_vccnz .LBB1_2
; %bb.1:
	v_dual_mov_b32 v1, s4 :: v_dual_mov_b32 v2, s5
	flat_load_b64 v[1:2], v[1:2]
.LBB1_2:
	s_mov_b32 s2, exec_lo
	s_wait_loadcnt_dscnt 0x0
	v_cmpx_neq_f64_e32 0, v[1:2]
	s_cbranch_execz .LBB1_12
; %bb.3:
	s_load_b32 s28, s[0:1], 0x68
	s_lshr_b32 s4, ttmp7, 16
	s_wait_kmcnt 0x0
	s_wait_alu 0xfffe
	s_cmp_ge_u32 s4, s28
	s_cbranch_scc1 .LBB1_12
; %bb.4:
	s_load_b64 s[2:3], s[0:1], 0x0
	s_lshl_b64 s[8:9], s[8:9], 3
	s_lshl_b64 s[16:17], s[16:17], 3
	v_and_b32_e32 v3, 0x3ff, v0
	v_bfe_u32 v0, v0, 10, 10
	s_load_b256 s[20:27], s[0:1], 0x48
	s_add_nc_u64 s[6:7], s[6:7], s[8:9]
	s_add_nc_u64 s[8:9], s[14:15], s[16:17]
	v_lshl_add_u32 v15, ttmp9, 7, v3
	s_mov_b32 s5, 0
	s_delay_alu instid0(VALU_DEP_1) | instskip(SKIP_3) | instid1(VALU_DEP_4)
	v_ashrrev_i32_e32 v8, 31, v15
	v_mul_lo_u32 v12, s11, v15
	v_mad_co_u64_u32 v[3:4], null, s10, v15, 0
	v_mul_lo_u32 v13, s19, v15
	v_mul_lo_u32 v16, s10, v8
	;; [unrolled: 1-line block ×3, first 2 shown]
	s_wait_kmcnt 0x0
	s_bitcmp1_b32 s2, 8
	s_cselect_b32 vcc_lo, -1, 0
	s_and_b32 s0, ttmp7, 0xffff
	s_wait_alu 0xfffe
	v_lshl_add_u32 v0, s0, 3, v0
	s_lshl_b32 s0, s3, 1
	v_add3_u32 v4, v4, v16, v12
	s_lshl_b64 s[14:15], s[24:25], 3
	s_wait_alu 0xfffe
	v_sub_nc_u32_e32 v5, s0, v0
	v_mad_u32_u24 v14, v0, v0, v0
	v_mad_co_u64_u32 v[8:9], null, s18, v0, 0
	v_mad_co_u64_u32 v[10:11], null, s10, v0, 0
	s_delay_alu instid0(VALU_DEP_4) | instskip(NEXT) | instid1(VALU_DEP_4)
	v_mad_co_u64_u32 v[5:6], null, v0, v5, v[0:1]
	v_lshrrev_b32_e32 v18, 31, v14
	v_mad_co_u64_u32 v[6:7], null, s18, v15, 0
	v_sub_nc_u32_e32 v12, v15, v0
	s_add_nc_u64 s[14:15], s[22:23], s[14:15]
	s_delay_alu instid0(VALU_DEP_3)
	v_add_nc_u32_e32 v14, v14, v18
	v_lshrrev_b32_e32 v19, 31, v5
	v_cmp_gt_i32_e64 s0, s3, v15
	v_cmp_ge_i32_e64 s1, v15, v0
	v_add3_u32 v7, v7, v17, v13
	v_cmp_gt_i32_e64 s2, s3, v0
	v_add_nc_u32_e32 v5, v5, v19
	v_cmp_le_i32_e64 s3, v15, v0
	s_xor_b32 s10, vcc_lo, -1
	v_lshlrev_b64_e32 v[3:4], 3, v[3:4]
	s_and_b32 s0, s1, s0
	v_ashrrev_i32_e32 v16, 1, v5
	v_mov_b32_e32 v5, v9
	v_ashrrev_i32_e32 v14, 1, v14
	v_mov_b32_e32 v9, v11
	s_and_b32 s1, s3, s2
	v_add_nc_u32_e32 v16, v12, v16
	v_mad_co_u64_u32 v[11:12], null, s19, v0, v[5:6]
	v_add_nc_u32_e32 v14, v14, v15
	v_mad_co_u64_u32 v[12:13], null, s11, v0, v[9:10]
	v_lshlrev_b64_e32 v[5:6], 3, v[6:7]
	s_delay_alu instid0(VALU_DEP_4) | instskip(NEXT) | instid1(VALU_DEP_4)
	v_mov_b32_e32 v9, v11
	v_cndmask_b32_e32 v13, v16, v14, vcc_lo
	s_delay_alu instid0(VALU_DEP_4) | instskip(NEXT) | instid1(VALU_DEP_3)
	v_mov_b32_e32 v11, v12
	v_lshlrev_b64_e32 v[7:8], 3, v[8:9]
	s_delay_alu instid0(VALU_DEP_3) | instskip(NEXT) | instid1(VALU_DEP_3)
	v_ashrrev_i32_e32 v14, 31, v13
	v_lshlrev_b64_e32 v[9:10], 3, v[10:11]
	s_delay_alu instid0(VALU_DEP_2) | instskip(NEXT) | instid1(VALU_DEP_1)
	v_lshlrev_b64_e32 v[12:13], 3, v[13:14]
	v_add_co_u32 v0, vcc_lo, s14, v12
	s_wait_alu 0xfffd
	s_delay_alu instid0(VALU_DEP_2)
	v_add_co_ci_u32_e64 v11, null, s15, v13, vcc_lo
	s_branch .LBB1_6
.LBB1_5:                                ;   in Loop: Header=BB1_6 Depth=1
	s_wait_alu 0xfffe
	s_or_b32 exec_lo, exec_lo, s2
	s_add_co_i32 s4, s4, 0x10000
	s_wait_alu 0xfffe
	s_cmp_lt_u32 s4, s28
	s_cbranch_scc0 .LBB1_12
.LBB1_6:                                ; =>This Inner Loop Header: Depth=1
	s_wait_alu 0xfffe
	s_and_b32 vcc_lo, exec_lo, s10
	s_mov_b32 s3, 0
	s_mov_b32 s2, -1
	s_wait_alu 0xfffe
	s_cbranch_vccnz .LBB1_9
; %bb.7:                                ;   in Loop: Header=BB1_6 Depth=1
	s_and_not1_b32 vcc_lo, exec_lo, s2
	s_wait_alu 0xfffe
	s_cbranch_vccz .LBB1_10
.LBB1_8:                                ;   in Loop: Header=BB1_6 Depth=1
	s_wait_alu 0xfffe
	s_and_saveexec_b32 s2, s3
	s_cbranch_execz .LBB1_5
	s_branch .LBB1_11
.LBB1_9:                                ;   in Loop: Header=BB1_6 Depth=1
	s_and_b32 s3, s0, exec_lo
	s_cbranch_execnz .LBB1_8
.LBB1_10:                               ;   in Loop: Header=BB1_6 Depth=1
	s_wait_alu 0xfffe
	s_and_not1_b32 s2, s3, exec_lo
	s_and_b32 s3, s1, exec_lo
	s_wait_alu 0xfffe
	s_or_b32 s3, s2, s3
	s_wait_alu 0xfffe
	s_and_saveexec_b32 s2, s3
	s_cbranch_execz .LBB1_5
.LBB1_11:                               ;   in Loop: Header=BB1_6 Depth=1
	s_mul_u64 s[14:15], s[20:21], s[4:5]
	s_mul_u64 s[16:17], s[12:13], s[4:5]
	s_wait_alu 0xfffe
	s_lshl_b64 s[14:15], s[14:15], 3
	s_lshl_b64 s[16:17], s[16:17], 3
	s_wait_alu 0xfffe
	s_add_nc_u64 s[14:15], s[8:9], s[14:15]
	s_add_nc_u64 s[16:17], s[6:7], s[16:17]
	s_wait_alu 0xfffe
	v_add_co_u32 v12, vcc_lo, s14, v5
	s_wait_alu 0xfffd
	v_add_co_ci_u32_e64 v13, null, s15, v6, vcc_lo
	v_add_co_u32 v14, vcc_lo, s16, v3
	s_wait_alu 0xfffd
	v_add_co_ci_u32_e64 v15, null, s17, v4, vcc_lo
	global_load_b64 v[12:13], v[12:13], off
	v_add_co_u32 v16, vcc_lo, s16, v9
	s_wait_alu 0xfffd
	v_add_co_ci_u32_e64 v17, null, s17, v10, vcc_lo
	s_clause 0x1
	global_load_b64 v[14:15], v[14:15], off
	global_load_b64 v[16:17], v[16:17], off
	v_add_co_u32 v18, vcc_lo, s14, v7
	s_wait_alu 0xfffd
	v_add_co_ci_u32_e64 v19, null, s15, v8, vcc_lo
	s_mul_u64 s[14:15], s[26:27], s[4:5]
	s_wait_alu 0xfffe
	s_lshl_b64 s[14:15], s[14:15], 3
	global_load_b64 v[18:19], v[18:19], off
	s_wait_alu 0xfffe
	v_add_co_u32 v20, vcc_lo, v0, s14
	s_wait_alu 0xfffd
	v_add_co_ci_u32_e64 v21, null, s15, v11, vcc_lo
	global_load_b64 v[22:23], v[20:21], off
	s_wait_loadcnt 0x4
	v_mul_f64_e32 v[12:13], v[1:2], v[12:13]
	s_wait_loadcnt 0x3
	v_mul_f64_e32 v[14:15], v[1:2], v[14:15]
	s_wait_loadcnt 0x2
	s_delay_alu instid0(VALU_DEP_2) | instskip(SKIP_1) | instid1(VALU_DEP_1)
	v_mul_f64_e32 v[12:13], v[12:13], v[16:17]
	s_wait_loadcnt 0x1
	v_fma_f64 v[12:13], v[14:15], v[18:19], v[12:13]
	s_wait_loadcnt 0x0
	s_delay_alu instid0(VALU_DEP_1)
	v_add_f64_e32 v[12:13], v[22:23], v[12:13]
	global_store_b64 v[20:21], v[12:13], off
	s_branch .LBB1_5
.LBB1_12:
	s_endpgm
	.section	.rodata,"a",@progbits
	.p2align	6, 0x0
	.amdhsa_kernel _ZL19rocblas_spr2_kernelILi128ELi8ELi1E24rocblas_internal_val_ptrIdEPKdPdEvbbiT2_T3_lllS6_lllT4_lli
		.amdhsa_group_segment_fixed_size 0
		.amdhsa_private_segment_fixed_size 0
		.amdhsa_kernarg_size 108
		.amdhsa_user_sgpr_count 2
		.amdhsa_user_sgpr_dispatch_ptr 0
		.amdhsa_user_sgpr_queue_ptr 0
		.amdhsa_user_sgpr_kernarg_segment_ptr 1
		.amdhsa_user_sgpr_dispatch_id 0
		.amdhsa_user_sgpr_private_segment_size 0
		.amdhsa_wavefront_size32 1
		.amdhsa_uses_dynamic_stack 0
		.amdhsa_enable_private_segment 0
		.amdhsa_system_sgpr_workgroup_id_x 1
		.amdhsa_system_sgpr_workgroup_id_y 1
		.amdhsa_system_sgpr_workgroup_id_z 1
		.amdhsa_system_sgpr_workgroup_info 0
		.amdhsa_system_vgpr_workitem_id 1
		.amdhsa_next_free_vgpr 24
		.amdhsa_next_free_sgpr 29
		.amdhsa_reserve_vcc 1
		.amdhsa_float_round_mode_32 0
		.amdhsa_float_round_mode_16_64 0
		.amdhsa_float_denorm_mode_32 3
		.amdhsa_float_denorm_mode_16_64 3
		.amdhsa_fp16_overflow 0
		.amdhsa_workgroup_processor_mode 1
		.amdhsa_memory_ordered 1
		.amdhsa_forward_progress 1
		.amdhsa_inst_pref_size 8
		.amdhsa_round_robin_scheduling 0
		.amdhsa_exception_fp_ieee_invalid_op 0
		.amdhsa_exception_fp_denorm_src 0
		.amdhsa_exception_fp_ieee_div_zero 0
		.amdhsa_exception_fp_ieee_overflow 0
		.amdhsa_exception_fp_ieee_underflow 0
		.amdhsa_exception_fp_ieee_inexact 0
		.amdhsa_exception_int_div_zero 0
	.end_amdhsa_kernel
	.section	.text._ZL19rocblas_spr2_kernelILi128ELi8ELi1E24rocblas_internal_val_ptrIdEPKdPdEvbbiT2_T3_lllS6_lllT4_lli,"axG",@progbits,_ZL19rocblas_spr2_kernelILi128ELi8ELi1E24rocblas_internal_val_ptrIdEPKdPdEvbbiT2_T3_lllS6_lllT4_lli,comdat
.Lfunc_end1:
	.size	_ZL19rocblas_spr2_kernelILi128ELi8ELi1E24rocblas_internal_val_ptrIdEPKdPdEvbbiT2_T3_lllS6_lllT4_lli, .Lfunc_end1-_ZL19rocblas_spr2_kernelILi128ELi8ELi1E24rocblas_internal_val_ptrIdEPKdPdEvbbiT2_T3_lllS6_lllT4_lli
                                        ; -- End function
	.set _ZL19rocblas_spr2_kernelILi128ELi8ELi1E24rocblas_internal_val_ptrIdEPKdPdEvbbiT2_T3_lllS6_lllT4_lli.num_vgpr, 24
	.set _ZL19rocblas_spr2_kernelILi128ELi8ELi1E24rocblas_internal_val_ptrIdEPKdPdEvbbiT2_T3_lllS6_lllT4_lli.num_agpr, 0
	.set _ZL19rocblas_spr2_kernelILi128ELi8ELi1E24rocblas_internal_val_ptrIdEPKdPdEvbbiT2_T3_lllS6_lllT4_lli.numbered_sgpr, 29
	.set _ZL19rocblas_spr2_kernelILi128ELi8ELi1E24rocblas_internal_val_ptrIdEPKdPdEvbbiT2_T3_lllS6_lllT4_lli.num_named_barrier, 0
	.set _ZL19rocblas_spr2_kernelILi128ELi8ELi1E24rocblas_internal_val_ptrIdEPKdPdEvbbiT2_T3_lllS6_lllT4_lli.private_seg_size, 0
	.set _ZL19rocblas_spr2_kernelILi128ELi8ELi1E24rocblas_internal_val_ptrIdEPKdPdEvbbiT2_T3_lllS6_lllT4_lli.uses_vcc, 1
	.set _ZL19rocblas_spr2_kernelILi128ELi8ELi1E24rocblas_internal_val_ptrIdEPKdPdEvbbiT2_T3_lllS6_lllT4_lli.uses_flat_scratch, 0
	.set _ZL19rocblas_spr2_kernelILi128ELi8ELi1E24rocblas_internal_val_ptrIdEPKdPdEvbbiT2_T3_lllS6_lllT4_lli.has_dyn_sized_stack, 0
	.set _ZL19rocblas_spr2_kernelILi128ELi8ELi1E24rocblas_internal_val_ptrIdEPKdPdEvbbiT2_T3_lllS6_lllT4_lli.has_recursion, 0
	.set _ZL19rocblas_spr2_kernelILi128ELi8ELi1E24rocblas_internal_val_ptrIdEPKdPdEvbbiT2_T3_lllS6_lllT4_lli.has_indirect_call, 0
	.section	.AMDGPU.csdata,"",@progbits
; Kernel info:
; codeLenInByte = 932
; TotalNumSgprs: 31
; NumVgprs: 24
; ScratchSize: 0
; MemoryBound: 0
; FloatMode: 240
; IeeeMode: 1
; LDSByteSize: 0 bytes/workgroup (compile time only)
; SGPRBlocks: 0
; VGPRBlocks: 2
; NumSGPRsForWavesPerEU: 31
; NumVGPRsForWavesPerEU: 24
; Occupancy: 16
; WaveLimiterHint : 1
; COMPUTE_PGM_RSRC2:SCRATCH_EN: 0
; COMPUTE_PGM_RSRC2:USER_SGPR: 2
; COMPUTE_PGM_RSRC2:TRAP_HANDLER: 0
; COMPUTE_PGM_RSRC2:TGID_X_EN: 1
; COMPUTE_PGM_RSRC2:TGID_Y_EN: 1
; COMPUTE_PGM_RSRC2:TGID_Z_EN: 1
; COMPUTE_PGM_RSRC2:TIDIG_COMP_CNT: 1
	.section	.text._ZL19rocblas_spr2_kernelILi128ELi8ELi2E24rocblas_internal_val_ptrIfEPKPKfPKPfEvbbiT2_T3_lllSA_lllT4_lli,"axG",@progbits,_ZL19rocblas_spr2_kernelILi128ELi8ELi2E24rocblas_internal_val_ptrIfEPKPKfPKPfEvbbiT2_T3_lllSA_lllT4_lli,comdat
	.globl	_ZL19rocblas_spr2_kernelILi128ELi8ELi2E24rocblas_internal_val_ptrIfEPKPKfPKPfEvbbiT2_T3_lllSA_lllT4_lli ; -- Begin function _ZL19rocblas_spr2_kernelILi128ELi8ELi2E24rocblas_internal_val_ptrIfEPKPKfPKPfEvbbiT2_T3_lllSA_lllT4_lli
	.p2align	8
	.type	_ZL19rocblas_spr2_kernelILi128ELi8ELi2E24rocblas_internal_val_ptrIfEPKPKfPKPfEvbbiT2_T3_lllSA_lllT4_lli,@function
_ZL19rocblas_spr2_kernelILi128ELi8ELi2E24rocblas_internal_val_ptrIfEPKPKfPKPfEvbbiT2_T3_lllSA_lllT4_lli: ; @_ZL19rocblas_spr2_kernelILi128ELi8ELi2E24rocblas_internal_val_ptrIfEPKPKfPKPfEvbbiT2_T3_lllSA_lllT4_lli
; %bb.0:
	s_clause 0x1
	s_load_b32 s2, s[0:1], 0x0
	s_load_b256 s[4:11], s[0:1], 0x8
	s_wait_kmcnt 0x0
	s_bitcmp0_b32 s2, 0
	s_mov_b32 s2, 0
	s_cbranch_scc0 .LBB2_2
; %bb.1:
	s_load_b32 s24, s[4:5], 0x0
	s_and_not1_b32 vcc_lo, exec_lo, s2
	s_cbranch_vccz .LBB2_3
	s_branch .LBB2_4
.LBB2_2:
                                        ; implicit-def: $sgpr24
.LBB2_3:
	s_wait_kmcnt 0x0
	s_mov_b32 s24, s4
.LBB2_4:
	s_wait_kmcnt 0x0
	s_cmp_eq_f32 s24, 0
	s_cbranch_scc1 .LBB2_20
; %bb.5:
	s_load_b32 s25, s[0:1], 0x68
	s_lshr_b32 s20, ttmp7, 16
	s_wait_kmcnt 0x0
	s_cmp_ge_u32 s20, s25
	s_cbranch_scc1 .LBB2_20
; %bb.6:
	s_clause 0x1
	s_load_b64 s[2:3], s[0:1], 0x0
	s_load_b64 s[22:23], s[0:1], 0x40
	v_and_b32_e32 v1, 0x3ff, v0
	v_bfe_u32 v0, v0, 10, 10
	s_clause 0x1
	s_load_b128 s[12:15], s[0:1], 0x30
	s_load_b128 s[16:19], s[0:1], 0x50
	s_mov_b32 s21, 0
	v_lshl_add_u32 v12, ttmp9, 8, v1
	s_delay_alu instid0(VALU_DEP_1) | instskip(SKIP_3) | instid1(VALU_DEP_4)
	v_ashrrev_i32_e32 v1, 31, v12
	v_add_nc_u32_e32 v16, 0x80, v12
	v_mul_lo_u32 v17, s11, v12
	v_mad_co_u64_u32 v[4:5], null, s10, v12, 0
	v_mul_lo_u32 v18, s10, v1
	s_delay_alu instid0(VALU_DEP_4)
	v_ashrrev_i32_e32 v14, 31, v16
	v_mul_lo_u32 v19, s11, v16
	s_wait_kmcnt 0x0
	s_bitcmp1_b32 s2, 8
	v_mul_lo_u32 v20, s22, v1
	s_cselect_b32 s0, -1, 0
	s_wait_alu 0xfffe
	s_and_b32 s1, ttmp7, 0xffff
	s_lshl_b32 s2, s3, 1
	s_wait_alu 0xfffe
	v_lshl_add_u32 v0, s1, 3, v0
	v_cmp_gt_i32_e32 vcc_lo, s3, v12
	v_cmp_gt_i32_e64 s1, s3, v16
	v_mul_lo_u32 v21, s23, v12
	v_mad_co_u64_u32 v[6:7], null, s22, v12, 0
	v_mad_co_u64_u32 v[1:2], null, v0, v0, v[0:1]
	v_sub_nc_u32_e32 v3, s2, v0
	v_ashrrev_i32_e32 v15, 31, v0
	v_mad_co_u64_u32 v[8:9], null, s22, v0, 0
	v_mul_lo_u32 v23, s11, v0
	v_mad_co_u64_u32 v[10:11], null, s10, v0, 0
	v_mad_co_u64_u32 v[2:3], null, v0, v3, v[0:1]
	v_lshrrev_b32_e32 v24, 31, v1
	v_mul_lo_u32 v3, s23, v0
	v_mul_lo_u32 v26, s22, v15
	;; [unrolled: 1-line block ×3, first 2 shown]
	v_sub_nc_u32_e32 v13, v12, v0
	v_add_nc_u32_e32 v1, v1, v24
	v_lshrrev_b32_e32 v25, 31, v2
	v_cmp_gt_i32_e64 s2, s3, v0
	v_cmp_ge_i32_e64 s3, v12, v0
	v_mul_lo_u32 v22, s10, v14
	v_ashrrev_i32_e32 v1, 1, v1
	v_add_nc_u32_e32 v2, v2, v25
	v_cmp_le_i32_e64 s4, v12, v0
	v_add3_u32 v9, v9, v26, v3
	v_add3_u32 v11, v11, v15, v23
	v_add_nc_u32_e32 v1, v1, v12
	v_ashrrev_i32_e32 v2, 1, v2
	v_mul_lo_u32 v3, s22, v14
	v_mul_lo_u32 v23, s23, v16
	v_mad_co_u64_u32 v[14:15], null, s22, v16, 0
	s_delay_alu instid0(VALU_DEP_4)
	v_add_nc_u32_e32 v2, v13, v2
	v_mad_co_u64_u32 v[12:13], null, s10, v16, 0
	v_cmp_le_i32_e64 s5, v0, v16
	s_and_b32 s26, s3, vcc_lo
	v_cmp_le_i32_e32 vcc_lo, v16, v0
	v_cndmask_b32_e64 v16, v2, v1, s0
	v_add3_u32 v5, v5, v18, v17
	v_add3_u32 v7, v7, v20, v21
	v_add3_u32 v13, v13, v22, v19
	v_add3_u32 v15, v15, v3, v23
	v_ashrrev_i32_e32 v17, 31, v16
	v_lshlrev_b64_e32 v[0:1], 2, v[8:9]
	v_lshlrev_b64_e32 v[2:3], 2, v[10:11]
	;; [unrolled: 1-line block ×7, first 2 shown]
	s_and_b32 s27, s4, s2
	s_and_b32 s22, s5, s1
	s_and_b32 s23, s2, vcc_lo
	s_xor_b32 s28, s0, -1
	s_lshl_b64 s[0:1], s[18:19], 2
	s_lshl_b64 s[2:3], s[8:9], 2
	;; [unrolled: 1-line block ×3, first 2 shown]
	s_branch .LBB2_8
.LBB2_7:                                ;   in Loop: Header=BB2_8 Depth=1
	s_or_b32 exec_lo, exec_lo, s18
	s_add_co_i32 s20, s20, 0x10000
	s_delay_alu instid0(SALU_CYCLE_1)
	s_cmp_lt_u32 s20, s25
	s_cbranch_scc0 .LBB2_20
.LBB2_8:                                ; =>This Inner Loop Header: Depth=1
	s_and_b32 vcc_lo, exec_lo, s28
	s_mov_b32 s18, 0
	s_mov_b32 s8, -1
	s_wait_alu 0xfffe
	s_cbranch_vccz .LBB2_10
; %bb.9:                                ;   in Loop: Header=BB2_8 Depth=1
	s_mov_b32 s8, 0
	s_and_b32 s18, s26, exec_lo
.LBB2_10:                               ;   in Loop: Header=BB2_8 Depth=1
	s_wait_alu 0xfffe
	s_and_not1_b32 vcc_lo, exec_lo, s8
	s_wait_alu 0xfffe
	s_cbranch_vccnz .LBB2_12
; %bb.11:                               ;   in Loop: Header=BB2_8 Depth=1
	s_and_not1_b32 s8, s18, exec_lo
	s_and_b32 s9, s27, exec_lo
	s_wait_alu 0xfffe
	s_or_b32 s18, s8, s9
.LBB2_12:                               ;   in Loop: Header=BB2_8 Depth=1
	s_lshl_b64 s[8:9], s[20:21], 3
	s_wait_alu 0xfffe
	s_add_nc_u64 s[10:11], s[6:7], s[8:9]
	s_add_nc_u64 s[14:15], s[12:13], s[8:9]
	s_load_b64 s[10:11], s[10:11], 0x0
	s_load_b64 s[14:15], s[14:15], 0x0
	s_add_nc_u64 s[8:9], s[16:17], s[8:9]
	s_load_b64 s[8:9], s[8:9], 0x0
	s_wait_kmcnt 0x0
	s_add_nc_u64 s[10:11], s[10:11], s[2:3]
	s_add_nc_u64 s[14:15], s[14:15], s[4:5]
	s_wait_alu 0xfffe
	v_add_co_u32 v14, vcc_lo, s14, v0
	s_wait_alu 0xfffd
	v_add_co_ci_u32_e64 v15, null, s15, v1, vcc_lo
	v_add_co_u32 v16, vcc_lo, s10, v2
	s_wait_alu 0xfffd
	v_add_co_ci_u32_e64 v17, null, s11, v3, vcc_lo
	s_add_nc_u64 s[8:9], s[8:9], s[0:1]
	s_and_saveexec_b32 s19, s18
	s_cbranch_execz .LBB2_14
; %bb.13:                               ;   in Loop: Header=BB2_8 Depth=1
	v_add_co_u32 v18, vcc_lo, s14, v6
	s_wait_alu 0xfffd
	v_add_co_ci_u32_e64 v19, null, s15, v7, vcc_lo
	v_add_co_u32 v20, vcc_lo, s10, v4
	s_wait_alu 0xfffd
	v_add_co_ci_u32_e64 v21, null, s11, v5, vcc_lo
	flat_load_b32 v22, v[18:19]
	s_clause 0x1
	flat_load_b32 v20, v[20:21]
	flat_load_b32 v21, v[16:17]
	;; [unrolled: 1-line block ×3, first 2 shown]
	s_wait_alu 0xfffe
	v_add_co_u32 v18, vcc_lo, s8, v8
	s_wait_alu 0xfffd
	v_add_co_ci_u32_e64 v19, null, s9, v9, vcc_lo
	flat_load_b32 v24, v[18:19]
	s_wait_loadcnt_dscnt 0x303
	v_mul_f32_e32 v20, s24, v20
	v_mul_f32_e32 v22, s24, v22
	s_wait_loadcnt_dscnt 0x202
	s_delay_alu instid0(VALU_DEP_1) | instskip(SKIP_1) | instid1(VALU_DEP_1)
	v_mul_f32_e32 v21, v22, v21
	s_wait_loadcnt_dscnt 0x101
	v_fmac_f32_e32 v21, v20, v23
	s_wait_loadcnt_dscnt 0x0
	s_delay_alu instid0(VALU_DEP_1)
	v_add_f32_e32 v20, v24, v21
	flat_store_b32 v[18:19], v20
.LBB2_14:                               ;   in Loop: Header=BB2_8 Depth=1
	s_or_b32 exec_lo, exec_lo, s19
	s_delay_alu instid0(SALU_CYCLE_1)
	s_and_not1_b32 vcc_lo, exec_lo, s28
	s_wait_alu 0xfffe
	s_cbranch_vccnz .LBB2_19
; %bb.15:                               ;   in Loop: Header=BB2_8 Depth=1
	s_and_b32 s19, s22, exec_lo
	s_cbranch_execnz .LBB2_17
.LBB2_16:                               ;   in Loop: Header=BB2_8 Depth=1
	s_and_not1_b32 s18, s19, exec_lo
	s_and_b32 s19, s23, exec_lo
	s_delay_alu instid0(SALU_CYCLE_1)
	s_or_b32 s19, s18, s19
.LBB2_17:                               ;   in Loop: Header=BB2_8 Depth=1
	s_delay_alu instid0(SALU_CYCLE_1)
	s_and_saveexec_b32 s18, s19
	s_cbranch_execz .LBB2_7
; %bb.18:                               ;   in Loop: Header=BB2_8 Depth=1
	v_add_co_u32 v18, vcc_lo, s14, v12
	s_wait_alu 0xfffd
	v_add_co_ci_u32_e64 v19, null, s15, v13, vcc_lo
	v_add_co_u32 v20, vcc_lo, s10, v10
	s_wait_alu 0xfffd
	v_add_co_ci_u32_e64 v21, null, s11, v11, vcc_lo
	flat_load_b32 v18, v[18:19]
	s_clause 0x1
	flat_load_b32 v19, v[20:21]
	flat_load_b32 v16, v[16:17]
	;; [unrolled: 1-line block ×3, first 2 shown]
	v_add_co_u32 v14, vcc_lo, s8, v8
	s_wait_alu 0xfffd
	v_add_co_ci_u32_e64 v15, null, s9, v9, vcc_lo
	flat_load_b32 v20, v[14:15] offset:512
	s_wait_loadcnt_dscnt 0x303
	v_dual_mul_f32 v18, s24, v18 :: v_dual_mul_f32 v19, s24, v19
	s_wait_loadcnt_dscnt 0x202
	s_delay_alu instid0(VALU_DEP_1) | instskip(SKIP_1) | instid1(VALU_DEP_1)
	v_mul_f32_e32 v16, v18, v16
	s_wait_loadcnt_dscnt 0x101
	v_fmac_f32_e32 v16, v19, v17
	s_wait_loadcnt_dscnt 0x0
	s_delay_alu instid0(VALU_DEP_1)
	v_add_f32_e32 v16, v20, v16
	flat_store_b32 v[14:15], v16 offset:512
	s_branch .LBB2_7
.LBB2_19:                               ;   in Loop: Header=BB2_8 Depth=1
	s_mov_b32 s19, 0
	s_branch .LBB2_16
.LBB2_20:
	s_endpgm
	.section	.rodata,"a",@progbits
	.p2align	6, 0x0
	.amdhsa_kernel _ZL19rocblas_spr2_kernelILi128ELi8ELi2E24rocblas_internal_val_ptrIfEPKPKfPKPfEvbbiT2_T3_lllSA_lllT4_lli
		.amdhsa_group_segment_fixed_size 0
		.amdhsa_private_segment_fixed_size 0
		.amdhsa_kernarg_size 108
		.amdhsa_user_sgpr_count 2
		.amdhsa_user_sgpr_dispatch_ptr 0
		.amdhsa_user_sgpr_queue_ptr 0
		.amdhsa_user_sgpr_kernarg_segment_ptr 1
		.amdhsa_user_sgpr_dispatch_id 0
		.amdhsa_user_sgpr_private_segment_size 0
		.amdhsa_wavefront_size32 1
		.amdhsa_uses_dynamic_stack 0
		.amdhsa_enable_private_segment 0
		.amdhsa_system_sgpr_workgroup_id_x 1
		.amdhsa_system_sgpr_workgroup_id_y 1
		.amdhsa_system_sgpr_workgroup_id_z 1
		.amdhsa_system_sgpr_workgroup_info 0
		.amdhsa_system_vgpr_workitem_id 1
		.amdhsa_next_free_vgpr 27
		.amdhsa_next_free_sgpr 29
		.amdhsa_reserve_vcc 1
		.amdhsa_float_round_mode_32 0
		.amdhsa_float_round_mode_16_64 0
		.amdhsa_float_denorm_mode_32 3
		.amdhsa_float_denorm_mode_16_64 3
		.amdhsa_fp16_overflow 0
		.amdhsa_workgroup_processor_mode 1
		.amdhsa_memory_ordered 1
		.amdhsa_forward_progress 1
		.amdhsa_inst_pref_size 10
		.amdhsa_round_robin_scheduling 0
		.amdhsa_exception_fp_ieee_invalid_op 0
		.amdhsa_exception_fp_denorm_src 0
		.amdhsa_exception_fp_ieee_div_zero 0
		.amdhsa_exception_fp_ieee_overflow 0
		.amdhsa_exception_fp_ieee_underflow 0
		.amdhsa_exception_fp_ieee_inexact 0
		.amdhsa_exception_int_div_zero 0
	.end_amdhsa_kernel
	.section	.text._ZL19rocblas_spr2_kernelILi128ELi8ELi2E24rocblas_internal_val_ptrIfEPKPKfPKPfEvbbiT2_T3_lllSA_lllT4_lli,"axG",@progbits,_ZL19rocblas_spr2_kernelILi128ELi8ELi2E24rocblas_internal_val_ptrIfEPKPKfPKPfEvbbiT2_T3_lllSA_lllT4_lli,comdat
.Lfunc_end2:
	.size	_ZL19rocblas_spr2_kernelILi128ELi8ELi2E24rocblas_internal_val_ptrIfEPKPKfPKPfEvbbiT2_T3_lllSA_lllT4_lli, .Lfunc_end2-_ZL19rocblas_spr2_kernelILi128ELi8ELi2E24rocblas_internal_val_ptrIfEPKPKfPKPfEvbbiT2_T3_lllSA_lllT4_lli
                                        ; -- End function
	.set _ZL19rocblas_spr2_kernelILi128ELi8ELi2E24rocblas_internal_val_ptrIfEPKPKfPKPfEvbbiT2_T3_lllSA_lllT4_lli.num_vgpr, 27
	.set _ZL19rocblas_spr2_kernelILi128ELi8ELi2E24rocblas_internal_val_ptrIfEPKPKfPKPfEvbbiT2_T3_lllSA_lllT4_lli.num_agpr, 0
	.set _ZL19rocblas_spr2_kernelILi128ELi8ELi2E24rocblas_internal_val_ptrIfEPKPKfPKPfEvbbiT2_T3_lllSA_lllT4_lli.numbered_sgpr, 29
	.set _ZL19rocblas_spr2_kernelILi128ELi8ELi2E24rocblas_internal_val_ptrIfEPKPKfPKPfEvbbiT2_T3_lllSA_lllT4_lli.num_named_barrier, 0
	.set _ZL19rocblas_spr2_kernelILi128ELi8ELi2E24rocblas_internal_val_ptrIfEPKPKfPKPfEvbbiT2_T3_lllSA_lllT4_lli.private_seg_size, 0
	.set _ZL19rocblas_spr2_kernelILi128ELi8ELi2E24rocblas_internal_val_ptrIfEPKPKfPKPfEvbbiT2_T3_lllSA_lllT4_lli.uses_vcc, 1
	.set _ZL19rocblas_spr2_kernelILi128ELi8ELi2E24rocblas_internal_val_ptrIfEPKPKfPKPfEvbbiT2_T3_lllSA_lllT4_lli.uses_flat_scratch, 1
	.set _ZL19rocblas_spr2_kernelILi128ELi8ELi2E24rocblas_internal_val_ptrIfEPKPKfPKPfEvbbiT2_T3_lllSA_lllT4_lli.has_dyn_sized_stack, 0
	.set _ZL19rocblas_spr2_kernelILi128ELi8ELi2E24rocblas_internal_val_ptrIfEPKPKfPKPfEvbbiT2_T3_lllSA_lllT4_lli.has_recursion, 0
	.set _ZL19rocblas_spr2_kernelILi128ELi8ELi2E24rocblas_internal_val_ptrIfEPKPKfPKPfEvbbiT2_T3_lllSA_lllT4_lli.has_indirect_call, 0
	.section	.AMDGPU.csdata,"",@progbits
; Kernel info:
; codeLenInByte = 1244
; TotalNumSgprs: 31
; NumVgprs: 27
; ScratchSize: 0
; MemoryBound: 0
; FloatMode: 240
; IeeeMode: 1
; LDSByteSize: 0 bytes/workgroup (compile time only)
; SGPRBlocks: 0
; VGPRBlocks: 3
; NumSGPRsForWavesPerEU: 31
; NumVGPRsForWavesPerEU: 27
; Occupancy: 16
; WaveLimiterHint : 1
; COMPUTE_PGM_RSRC2:SCRATCH_EN: 0
; COMPUTE_PGM_RSRC2:USER_SGPR: 2
; COMPUTE_PGM_RSRC2:TRAP_HANDLER: 0
; COMPUTE_PGM_RSRC2:TGID_X_EN: 1
; COMPUTE_PGM_RSRC2:TGID_Y_EN: 1
; COMPUTE_PGM_RSRC2:TGID_Z_EN: 1
; COMPUTE_PGM_RSRC2:TIDIG_COMP_CNT: 1
	.section	.text._ZL19rocblas_spr2_kernelILi128ELi8ELi1E24rocblas_internal_val_ptrIdEPKPKdPKPdEvbbiT2_T3_lllSA_lllT4_lli,"axG",@progbits,_ZL19rocblas_spr2_kernelILi128ELi8ELi1E24rocblas_internal_val_ptrIdEPKPKdPKPdEvbbiT2_T3_lllSA_lllT4_lli,comdat
	.globl	_ZL19rocblas_spr2_kernelILi128ELi8ELi1E24rocblas_internal_val_ptrIdEPKPKdPKPdEvbbiT2_T3_lllSA_lllT4_lli ; -- Begin function _ZL19rocblas_spr2_kernelILi128ELi8ELi1E24rocblas_internal_val_ptrIdEPKPKdPKPdEvbbiT2_T3_lllSA_lllT4_lli
	.p2align	8
	.type	_ZL19rocblas_spr2_kernelILi128ELi8ELi1E24rocblas_internal_val_ptrIdEPKPKdPKPdEvbbiT2_T3_lllSA_lllT4_lli,@function
_ZL19rocblas_spr2_kernelILi128ELi8ELi1E24rocblas_internal_val_ptrIdEPKPKdPKPdEvbbiT2_T3_lllSA_lllT4_lli: ; @_ZL19rocblas_spr2_kernelILi128ELi8ELi1E24rocblas_internal_val_ptrIdEPKPKdPKPdEvbbiT2_T3_lllSA_lllT4_lli
; %bb.0:
	s_clause 0x1
	s_load_b32 s2, s[0:1], 0x0
	s_load_b256 s[4:11], s[0:1], 0x8
	s_wait_kmcnt 0x0
	s_bitcmp1_b32 s2, 0
	v_dual_mov_b32 v1, s4 :: v_dual_mov_b32 v2, s5
	s_cselect_b32 s2, -1, 0
	s_delay_alu instid0(SALU_CYCLE_1)
	s_and_b32 vcc_lo, exec_lo, s2
	s_cbranch_vccnz .LBB3_2
; %bb.1:
	v_dual_mov_b32 v1, s4 :: v_dual_mov_b32 v2, s5
	flat_load_b64 v[1:2], v[1:2]
.LBB3_2:
	s_mov_b32 s2, exec_lo
	s_wait_loadcnt_dscnt 0x0
	v_cmpx_neq_f64_e32 0, v[1:2]
	s_cbranch_execz .LBB3_12
; %bb.3:
	s_load_b32 s20, s[0:1], 0x68
	s_lshr_b32 s4, ttmp7, 16
	s_wait_kmcnt 0x0
	s_wait_alu 0xfffe
	s_cmp_ge_u32 s4, s20
	s_cbranch_scc1 .LBB3_12
; %bb.4:
	s_clause 0x1
	s_load_b64 s[2:3], s[0:1], 0x0
	s_load_b128 s[16:19], s[0:1], 0x50
	v_and_b32_e32 v3, 0x3ff, v0
	v_bfe_u32 v0, v0, 10, 10
	s_clause 0x1
	s_load_b64 s[22:23], s[0:1], 0x40
	s_load_b128 s[12:15], s[0:1], 0x30
	s_mov_b32 s5, 0
	v_lshl_add_u32 v6, ttmp9, 7, v3
	s_delay_alu instid0(VALU_DEP_1) | instskip(SKIP_2) | instid1(VALU_DEP_3)
	v_ashrrev_i32_e32 v5, 31, v6
	v_mul_lo_u32 v16, s11, v6
	v_mad_co_u64_u32 v[7:8], null, s10, v6, 0
	v_mul_lo_u32 v17, s10, v5
	s_wait_kmcnt 0x0
	s_bitcmp1_b32 s2, 8
	s_cselect_b32 vcc_lo, -1, 0
	s_and_b32 s2, ttmp7, 0xffff
	s_lshl_b32 s0, s3, 1
	v_lshl_add_u32 v0, s2, 3, v0
	v_mul_lo_u32 v18, s22, v5
	v_mul_lo_u32 v19, s23, v6
	v_mad_co_u64_u32 v[11:12], null, s22, v6, 0
	s_wait_alu 0xfffe
	v_sub_nc_u32_e32 v3, s0, v0
	v_mad_u32_u24 v13, v0, v0, v0
	v_mad_co_u64_u32 v[9:10], null, s10, v0, 0
	v_sub_nc_u32_e32 v20, v6, v0
	s_delay_alu instid0(VALU_DEP_4)
	v_mad_co_u64_u32 v[3:4], null, v0, v3, v[0:1]
	v_mad_co_u64_u32 v[4:5], null, s22, v0, 0
	v_lshrrev_b32_e32 v14, 31, v13
	v_add3_u32 v8, v8, v17, v16
	v_add3_u32 v12, v12, v18, v19
	v_cmp_gt_i32_e64 s0, s3, v6
	v_lshrrev_b32_e32 v15, 31, v3
	v_add_nc_u32_e32 v13, v13, v14
	v_cmp_ge_i32_e64 s1, v6, v0
	v_cmp_gt_i32_e64 s2, s3, v0
	v_cmp_le_i32_e64 s3, v6, v0
	v_dual_mov_b32 v3, v5 :: v_dual_add_nc_u32 v14, v3, v15
	v_lshlrev_b64_e32 v[7:8], 3, v[7:8]
	s_xor_b32 s10, vcc_lo, -1
	s_and_b32 s21, s3, s2
	s_delay_alu instid0(VALU_DEP_2)
	v_ashrrev_i32_e32 v21, 1, v14
	v_mov_b32_e32 v5, v10
	v_ashrrev_i32_e32 v10, 1, v13
	v_mad_co_u64_u32 v[13:14], null, s23, v0, v[3:4]
	s_lshl_b64 s[2:3], s[8:9], 3
	s_lshl_b64 s[8:9], s[14:15], 3
	v_add_nc_u32_e32 v3, v10, v6
	v_add_nc_u32_e32 v10, v20, v21
	v_mad_co_u64_u32 v[14:15], null, s11, v0, v[5:6]
	v_mov_b32_e32 v5, v13
	s_and_b32 s11, s1, s0
	s_delay_alu instid0(VALU_DEP_3) | instskip(SKIP_1) | instid1(VALU_DEP_2)
	v_cndmask_b32_e32 v13, v10, v3, vcc_lo
	s_lshl_b64 s[0:1], s[18:19], 3
	v_lshlrev_b64_e32 v[3:4], 3, v[4:5]
	s_delay_alu instid0(VALU_DEP_4) | instskip(NEXT) | instid1(VALU_DEP_3)
	v_mov_b32_e32 v10, v14
	v_ashrrev_i32_e32 v14, 31, v13
	s_delay_alu instid0(VALU_DEP_2) | instskip(SKIP_1) | instid1(VALU_DEP_3)
	v_lshlrev_b64_e32 v[5:6], 3, v[9:10]
	v_lshlrev_b64_e32 v[9:10], 3, v[11:12]
	v_lshlrev_b64_e32 v[11:12], 3, v[13:14]
	s_branch .LBB3_6
.LBB3_5:                                ;   in Loop: Header=BB3_6 Depth=1
	s_or_b32 exec_lo, exec_lo, s14
	s_add_co_i32 s4, s4, 0x10000
	s_wait_alu 0xfffe
	s_cmp_lt_u32 s4, s20
	s_cbranch_scc0 .LBB3_12
.LBB3_6:                                ; =>This Inner Loop Header: Depth=1
	s_wait_alu 0xfffe
	s_and_b32 vcc_lo, exec_lo, s10
	s_mov_b32 s15, 0
	s_mov_b32 s14, -1
	s_wait_alu 0xfffe
	s_cbranch_vccnz .LBB3_9
; %bb.7:                                ;   in Loop: Header=BB3_6 Depth=1
	s_and_not1_b32 vcc_lo, exec_lo, s14
	s_wait_alu 0xfffe
	s_cbranch_vccz .LBB3_10
.LBB3_8:                                ;   in Loop: Header=BB3_6 Depth=1
	s_and_saveexec_b32 s14, s15
	s_cbranch_execz .LBB3_5
	s_branch .LBB3_11
.LBB3_9:                                ;   in Loop: Header=BB3_6 Depth=1
	s_and_b32 s15, s11, exec_lo
	s_cbranch_execnz .LBB3_8
.LBB3_10:                               ;   in Loop: Header=BB3_6 Depth=1
	s_and_not1_b32 s14, s15, exec_lo
	s_and_b32 s15, s21, exec_lo
	s_delay_alu instid0(SALU_CYCLE_1) | instskip(NEXT) | instid1(SALU_CYCLE_1)
	s_or_b32 s15, s14, s15
	s_and_saveexec_b32 s14, s15
	s_cbranch_execz .LBB3_5
.LBB3_11:                               ;   in Loop: Header=BB3_6 Depth=1
	s_lshl_b64 s[18:19], s[4:5], 3
	s_wait_alu 0xfffe
	s_add_nc_u64 s[22:23], s[12:13], s[18:19]
	s_add_nc_u64 s[24:25], s[6:7], s[18:19]
	s_load_b64 s[22:23], s[22:23], 0x0
	s_load_b64 s[24:25], s[24:25], 0x0
	s_add_nc_u64 s[18:19], s[16:17], s[18:19]
	s_wait_kmcnt 0x0
	s_add_nc_u64 s[22:23], s[22:23], s[8:9]
	s_add_nc_u64 s[24:25], s[24:25], s[2:3]
	s_wait_alu 0xfffe
	v_add_co_u32 v13, vcc_lo, s22, v9
	s_wait_alu 0xfffd
	v_add_co_ci_u32_e64 v14, null, s23, v10, vcc_lo
	v_add_co_u32 v15, vcc_lo, s24, v7
	s_wait_alu 0xfffd
	v_add_co_ci_u32_e64 v16, null, s25, v8, vcc_lo
	flat_load_b64 v[13:14], v[13:14]
	v_add_co_u32 v17, vcc_lo, s24, v5
	s_wait_alu 0xfffd
	v_add_co_ci_u32_e64 v18, null, s25, v6, vcc_lo
	s_clause 0x1
	flat_load_b64 v[15:16], v[15:16]
	flat_load_b64 v[17:18], v[17:18]
	v_add_co_u32 v19, vcc_lo, s22, v3
	s_wait_alu 0xfffd
	v_add_co_ci_u32_e64 v20, null, s23, v4, vcc_lo
	s_load_b64 s[18:19], s[18:19], 0x0
	flat_load_b64 v[19:20], v[19:20]
	s_wait_kmcnt 0x0
	s_add_nc_u64 s[18:19], s[18:19], s[0:1]
	s_wait_alu 0xfffe
	v_add_co_u32 v21, vcc_lo, s18, v11
	s_wait_alu 0xfffd
	v_add_co_ci_u32_e64 v22, null, s19, v12, vcc_lo
	flat_load_b64 v[23:24], v[21:22]
	s_wait_loadcnt_dscnt 0x404
	v_mul_f64_e32 v[13:14], v[1:2], v[13:14]
	s_wait_loadcnt_dscnt 0x303
	v_mul_f64_e32 v[15:16], v[1:2], v[15:16]
	s_wait_loadcnt_dscnt 0x202
	s_delay_alu instid0(VALU_DEP_2) | instskip(SKIP_1) | instid1(VALU_DEP_1)
	v_mul_f64_e32 v[13:14], v[13:14], v[17:18]
	s_wait_loadcnt_dscnt 0x101
	v_fma_f64 v[13:14], v[15:16], v[19:20], v[13:14]
	s_wait_loadcnt_dscnt 0x0
	s_delay_alu instid0(VALU_DEP_1)
	v_add_f64_e32 v[13:14], v[23:24], v[13:14]
	flat_store_b64 v[21:22], v[13:14]
	s_branch .LBB3_5
.LBB3_12:
	s_endpgm
	.section	.rodata,"a",@progbits
	.p2align	6, 0x0
	.amdhsa_kernel _ZL19rocblas_spr2_kernelILi128ELi8ELi1E24rocblas_internal_val_ptrIdEPKPKdPKPdEvbbiT2_T3_lllSA_lllT4_lli
		.amdhsa_group_segment_fixed_size 0
		.amdhsa_private_segment_fixed_size 0
		.amdhsa_kernarg_size 108
		.amdhsa_user_sgpr_count 2
		.amdhsa_user_sgpr_dispatch_ptr 0
		.amdhsa_user_sgpr_queue_ptr 0
		.amdhsa_user_sgpr_kernarg_segment_ptr 1
		.amdhsa_user_sgpr_dispatch_id 0
		.amdhsa_user_sgpr_private_segment_size 0
		.amdhsa_wavefront_size32 1
		.amdhsa_uses_dynamic_stack 0
		.amdhsa_enable_private_segment 0
		.amdhsa_system_sgpr_workgroup_id_x 1
		.amdhsa_system_sgpr_workgroup_id_y 1
		.amdhsa_system_sgpr_workgroup_id_z 1
		.amdhsa_system_sgpr_workgroup_info 0
		.amdhsa_system_vgpr_workitem_id 1
		.amdhsa_next_free_vgpr 25
		.amdhsa_next_free_sgpr 26
		.amdhsa_reserve_vcc 1
		.amdhsa_float_round_mode_32 0
		.amdhsa_float_round_mode_16_64 0
		.amdhsa_float_denorm_mode_32 3
		.amdhsa_float_denorm_mode_16_64 3
		.amdhsa_fp16_overflow 0
		.amdhsa_workgroup_processor_mode 1
		.amdhsa_memory_ordered 1
		.amdhsa_forward_progress 1
		.amdhsa_inst_pref_size 8
		.amdhsa_round_robin_scheduling 0
		.amdhsa_exception_fp_ieee_invalid_op 0
		.amdhsa_exception_fp_denorm_src 0
		.amdhsa_exception_fp_ieee_div_zero 0
		.amdhsa_exception_fp_ieee_overflow 0
		.amdhsa_exception_fp_ieee_underflow 0
		.amdhsa_exception_fp_ieee_inexact 0
		.amdhsa_exception_int_div_zero 0
	.end_amdhsa_kernel
	.section	.text._ZL19rocblas_spr2_kernelILi128ELi8ELi1E24rocblas_internal_val_ptrIdEPKPKdPKPdEvbbiT2_T3_lllSA_lllT4_lli,"axG",@progbits,_ZL19rocblas_spr2_kernelILi128ELi8ELi1E24rocblas_internal_val_ptrIdEPKPKdPKPdEvbbiT2_T3_lllSA_lllT4_lli,comdat
.Lfunc_end3:
	.size	_ZL19rocblas_spr2_kernelILi128ELi8ELi1E24rocblas_internal_val_ptrIdEPKPKdPKPdEvbbiT2_T3_lllSA_lllT4_lli, .Lfunc_end3-_ZL19rocblas_spr2_kernelILi128ELi8ELi1E24rocblas_internal_val_ptrIdEPKPKdPKPdEvbbiT2_T3_lllSA_lllT4_lli
                                        ; -- End function
	.set _ZL19rocblas_spr2_kernelILi128ELi8ELi1E24rocblas_internal_val_ptrIdEPKPKdPKPdEvbbiT2_T3_lllSA_lllT4_lli.num_vgpr, 25
	.set _ZL19rocblas_spr2_kernelILi128ELi8ELi1E24rocblas_internal_val_ptrIdEPKPKdPKPdEvbbiT2_T3_lllSA_lllT4_lli.num_agpr, 0
	.set _ZL19rocblas_spr2_kernelILi128ELi8ELi1E24rocblas_internal_val_ptrIdEPKPKdPKPdEvbbiT2_T3_lllSA_lllT4_lli.numbered_sgpr, 26
	.set _ZL19rocblas_spr2_kernelILi128ELi8ELi1E24rocblas_internal_val_ptrIdEPKPKdPKPdEvbbiT2_T3_lllSA_lllT4_lli.num_named_barrier, 0
	.set _ZL19rocblas_spr2_kernelILi128ELi8ELi1E24rocblas_internal_val_ptrIdEPKPKdPKPdEvbbiT2_T3_lllSA_lllT4_lli.private_seg_size, 0
	.set _ZL19rocblas_spr2_kernelILi128ELi8ELi1E24rocblas_internal_val_ptrIdEPKPKdPKPdEvbbiT2_T3_lllSA_lllT4_lli.uses_vcc, 1
	.set _ZL19rocblas_spr2_kernelILi128ELi8ELi1E24rocblas_internal_val_ptrIdEPKPKdPKPdEvbbiT2_T3_lllSA_lllT4_lli.uses_flat_scratch, 1
	.set _ZL19rocblas_spr2_kernelILi128ELi8ELi1E24rocblas_internal_val_ptrIdEPKPKdPKPdEvbbiT2_T3_lllSA_lllT4_lli.has_dyn_sized_stack, 0
	.set _ZL19rocblas_spr2_kernelILi128ELi8ELi1E24rocblas_internal_val_ptrIdEPKPKdPKPdEvbbiT2_T3_lllSA_lllT4_lli.has_recursion, 0
	.set _ZL19rocblas_spr2_kernelILi128ELi8ELi1E24rocblas_internal_val_ptrIdEPKPKdPKPdEvbbiT2_T3_lllSA_lllT4_lli.has_indirect_call, 0
	.section	.AMDGPU.csdata,"",@progbits
; Kernel info:
; codeLenInByte = 916
; TotalNumSgprs: 28
; NumVgprs: 25
; ScratchSize: 0
; MemoryBound: 0
; FloatMode: 240
; IeeeMode: 1
; LDSByteSize: 0 bytes/workgroup (compile time only)
; SGPRBlocks: 0
; VGPRBlocks: 3
; NumSGPRsForWavesPerEU: 28
; NumVGPRsForWavesPerEU: 25
; Occupancy: 16
; WaveLimiterHint : 1
; COMPUTE_PGM_RSRC2:SCRATCH_EN: 0
; COMPUTE_PGM_RSRC2:USER_SGPR: 2
; COMPUTE_PGM_RSRC2:TRAP_HANDLER: 0
; COMPUTE_PGM_RSRC2:TGID_X_EN: 1
; COMPUTE_PGM_RSRC2:TGID_Y_EN: 1
; COMPUTE_PGM_RSRC2:TGID_Z_EN: 1
; COMPUTE_PGM_RSRC2:TIDIG_COMP_CNT: 1
	.section	.AMDGPU.gpr_maximums,"",@progbits
	.set amdgpu.max_num_vgpr, 0
	.set amdgpu.max_num_agpr, 0
	.set amdgpu.max_num_sgpr, 0
	.section	.AMDGPU.csdata,"",@progbits
	.type	__hip_cuid_5eaabc0c117c1d80,@object ; @__hip_cuid_5eaabc0c117c1d80
	.section	.bss,"aw",@nobits
	.globl	__hip_cuid_5eaabc0c117c1d80
__hip_cuid_5eaabc0c117c1d80:
	.byte	0                               ; 0x0
	.size	__hip_cuid_5eaabc0c117c1d80, 1

	.ident	"AMD clang version 22.0.0git (https://github.com/RadeonOpenCompute/llvm-project roc-7.2.4 26084 f58b06dce1f9c15707c5f808fd002e18c2accf7e)"
	.section	".note.GNU-stack","",@progbits
	.addrsig
	.addrsig_sym __hip_cuid_5eaabc0c117c1d80
	.amdgpu_metadata
---
amdhsa.kernels:
  - .args:
      - .offset:         0
        .size:           1
        .value_kind:     by_value
      - .offset:         1
        .size:           1
        .value_kind:     by_value
      - .offset:         4
        .size:           4
        .value_kind:     by_value
      - .offset:         8
        .size:           8
        .value_kind:     by_value
      - .address_space:  global
        .offset:         16
        .size:           8
        .value_kind:     global_buffer
      - .offset:         24
        .size:           8
        .value_kind:     by_value
      - .offset:         32
        .size:           8
        .value_kind:     by_value
      - .offset:         40
        .size:           8
        .value_kind:     by_value
      - .address_space:  global
        .offset:         48
        .size:           8
        .value_kind:     global_buffer
      - .offset:         56
        .size:           8
        .value_kind:     by_value
      - .offset:         64
        .size:           8
        .value_kind:     by_value
      - .offset:         72
        .size:           8
        .value_kind:     by_value
      - .address_space:  global
        .offset:         80
        .size:           8
        .value_kind:     global_buffer
      - .offset:         88
        .size:           8
        .value_kind:     by_value
      - .offset:         96
        .size:           8
        .value_kind:     by_value
      - .offset:         104
        .size:           4
        .value_kind:     by_value
    .group_segment_fixed_size: 0
    .kernarg_segment_align: 8
    .kernarg_segment_size: 108
    .language:       OpenCL C
    .language_version:
      - 2
      - 0
    .max_flat_workgroup_size: 1024
    .name:           _ZL19rocblas_spr2_kernelILi128ELi8ELi2E24rocblas_internal_val_ptrIfEPKfPfEvbbiT2_T3_lllS6_lllT4_lli
    .private_segment_fixed_size: 0
    .sgpr_count:     34
    .sgpr_spill_count: 0
    .symbol:         _ZL19rocblas_spr2_kernelILi128ELi8ELi2E24rocblas_internal_val_ptrIfEPKfPfEvbbiT2_T3_lllS6_lllT4_lli.kd
    .uniform_work_group_size: 1
    .uses_dynamic_stack: false
    .vgpr_count:     25
    .vgpr_spill_count: 0
    .wavefront_size: 32
    .workgroup_processor_mode: 1
  - .args:
      - .offset:         0
        .size:           1
        .value_kind:     by_value
      - .offset:         1
        .size:           1
        .value_kind:     by_value
      - .offset:         4
        .size:           4
        .value_kind:     by_value
      - .offset:         8
        .size:           8
        .value_kind:     by_value
      - .address_space:  global
        .offset:         16
        .size:           8
        .value_kind:     global_buffer
      - .offset:         24
        .size:           8
        .value_kind:     by_value
      - .offset:         32
        .size:           8
        .value_kind:     by_value
      - .offset:         40
        .size:           8
        .value_kind:     by_value
      - .address_space:  global
        .offset:         48
        .size:           8
        .value_kind:     global_buffer
      - .offset:         56
        .size:           8
        .value_kind:     by_value
      - .offset:         64
        .size:           8
        .value_kind:     by_value
      - .offset:         72
        .size:           8
        .value_kind:     by_value
      - .address_space:  global
        .offset:         80
        .size:           8
        .value_kind:     global_buffer
      - .offset:         88
        .size:           8
        .value_kind:     by_value
      - .offset:         96
        .size:           8
        .value_kind:     by_value
      - .offset:         104
        .size:           4
        .value_kind:     by_value
    .group_segment_fixed_size: 0
    .kernarg_segment_align: 8
    .kernarg_segment_size: 108
    .language:       OpenCL C
    .language_version:
      - 2
      - 0
    .max_flat_workgroup_size: 1024
    .name:           _ZL19rocblas_spr2_kernelILi128ELi8ELi1E24rocblas_internal_val_ptrIdEPKdPdEvbbiT2_T3_lllS6_lllT4_lli
    .private_segment_fixed_size: 0
    .sgpr_count:     31
    .sgpr_spill_count: 0
    .symbol:         _ZL19rocblas_spr2_kernelILi128ELi8ELi1E24rocblas_internal_val_ptrIdEPKdPdEvbbiT2_T3_lllS6_lllT4_lli.kd
    .uniform_work_group_size: 1
    .uses_dynamic_stack: false
    .vgpr_count:     24
    .vgpr_spill_count: 0
    .wavefront_size: 32
    .workgroup_processor_mode: 1
  - .args:
      - .offset:         0
        .size:           1
        .value_kind:     by_value
      - .offset:         1
        .size:           1
        .value_kind:     by_value
      - .offset:         4
        .size:           4
        .value_kind:     by_value
      - .offset:         8
        .size:           8
        .value_kind:     by_value
      - .address_space:  global
        .offset:         16
        .size:           8
        .value_kind:     global_buffer
      - .offset:         24
        .size:           8
        .value_kind:     by_value
      - .offset:         32
        .size:           8
        .value_kind:     by_value
      - .offset:         40
        .size:           8
        .value_kind:     by_value
      - .address_space:  global
        .offset:         48
        .size:           8
        .value_kind:     global_buffer
      - .offset:         56
        .size:           8
        .value_kind:     by_value
      - .offset:         64
        .size:           8
        .value_kind:     by_value
      - .offset:         72
        .size:           8
        .value_kind:     by_value
      - .address_space:  global
        .offset:         80
        .size:           8
        .value_kind:     global_buffer
      - .offset:         88
        .size:           8
        .value_kind:     by_value
      - .offset:         96
        .size:           8
        .value_kind:     by_value
      - .offset:         104
        .size:           4
        .value_kind:     by_value
    .group_segment_fixed_size: 0
    .kernarg_segment_align: 8
    .kernarg_segment_size: 108
    .language:       OpenCL C
    .language_version:
      - 2
      - 0
    .max_flat_workgroup_size: 1024
    .name:           _ZL19rocblas_spr2_kernelILi128ELi8ELi2E24rocblas_internal_val_ptrIfEPKPKfPKPfEvbbiT2_T3_lllSA_lllT4_lli
    .private_segment_fixed_size: 0
    .sgpr_count:     31
    .sgpr_spill_count: 0
    .symbol:         _ZL19rocblas_spr2_kernelILi128ELi8ELi2E24rocblas_internal_val_ptrIfEPKPKfPKPfEvbbiT2_T3_lllSA_lllT4_lli.kd
    .uniform_work_group_size: 1
    .uses_dynamic_stack: false
    .vgpr_count:     27
    .vgpr_spill_count: 0
    .wavefront_size: 32
    .workgroup_processor_mode: 1
  - .args:
      - .offset:         0
        .size:           1
        .value_kind:     by_value
      - .offset:         1
        .size:           1
        .value_kind:     by_value
      - .offset:         4
        .size:           4
        .value_kind:     by_value
      - .offset:         8
        .size:           8
        .value_kind:     by_value
      - .address_space:  global
        .offset:         16
        .size:           8
        .value_kind:     global_buffer
      - .offset:         24
        .size:           8
        .value_kind:     by_value
      - .offset:         32
        .size:           8
        .value_kind:     by_value
      - .offset:         40
        .size:           8
        .value_kind:     by_value
      - .address_space:  global
        .offset:         48
        .size:           8
        .value_kind:     global_buffer
      - .offset:         56
        .size:           8
        .value_kind:     by_value
      - .offset:         64
        .size:           8
        .value_kind:     by_value
      - .offset:         72
        .size:           8
        .value_kind:     by_value
      - .address_space:  global
        .offset:         80
        .size:           8
        .value_kind:     global_buffer
      - .offset:         88
        .size:           8
        .value_kind:     by_value
      - .offset:         96
        .size:           8
        .value_kind:     by_value
      - .offset:         104
        .size:           4
        .value_kind:     by_value
    .group_segment_fixed_size: 0
    .kernarg_segment_align: 8
    .kernarg_segment_size: 108
    .language:       OpenCL C
    .language_version:
      - 2
      - 0
    .max_flat_workgroup_size: 1024
    .name:           _ZL19rocblas_spr2_kernelILi128ELi8ELi1E24rocblas_internal_val_ptrIdEPKPKdPKPdEvbbiT2_T3_lllSA_lllT4_lli
    .private_segment_fixed_size: 0
    .sgpr_count:     28
    .sgpr_spill_count: 0
    .symbol:         _ZL19rocblas_spr2_kernelILi128ELi8ELi1E24rocblas_internal_val_ptrIdEPKPKdPKPdEvbbiT2_T3_lllSA_lllT4_lli.kd
    .uniform_work_group_size: 1
    .uses_dynamic_stack: false
    .vgpr_count:     25
    .vgpr_spill_count: 0
    .wavefront_size: 32
    .workgroup_processor_mode: 1
amdhsa.target:   amdgcn-amd-amdhsa--gfx1201
amdhsa.version:
  - 1
  - 2
...

	.end_amdgpu_metadata
